;; amdgpu-corpus repo=ROCm/rocFFT kind=compiled arch=gfx1030 opt=O3
	.text
	.amdgcn_target "amdgcn-amd-amdhsa--gfx1030"
	.amdhsa_code_object_version 6
	.protected	fft_rtc_back_len910_factors_13_2_7_5_wgs_182_tpt_91_dp_ip_CI_sbrr_dirReg ; -- Begin function fft_rtc_back_len910_factors_13_2_7_5_wgs_182_tpt_91_dp_ip_CI_sbrr_dirReg
	.globl	fft_rtc_back_len910_factors_13_2_7_5_wgs_182_tpt_91_dp_ip_CI_sbrr_dirReg
	.p2align	8
	.type	fft_rtc_back_len910_factors_13_2_7_5_wgs_182_tpt_91_dp_ip_CI_sbrr_dirReg,@function
fft_rtc_back_len910_factors_13_2_7_5_wgs_182_tpt_91_dp_ip_CI_sbrr_dirReg: ; @fft_rtc_back_len910_factors_13_2_7_5_wgs_182_tpt_91_dp_ip_CI_sbrr_dirReg
; %bb.0:
	s_clause 0x2
	s_load_dwordx2 s[14:15], s[4:5], 0x18
	s_load_dwordx4 s[8:11], s[4:5], 0x0
	s_load_dwordx2 s[12:13], s[4:5], 0x50
	v_mul_u32_u24_e32 v1, 0x2d1, v0
	v_mov_b32_e32 v3, 0
	v_lshrrev_b32_e32 v187, 16, v1
	v_mov_b32_e32 v1, 0
	v_mov_b32_e32 v6, v3
	v_mov_b32_e32 v2, 0
	v_lshl_add_u32 v5, s6, 1, v187
	s_waitcnt lgkmcnt(0)
	s_load_dwordx2 s[2:3], s[14:15], 0x0
	v_cmp_lt_u64_e64 s0, s[10:11], 2
	s_and_b32 vcc_lo, exec_lo, s0
	s_cbranch_vccnz .LBB0_8
; %bb.1:
	s_load_dwordx2 s[0:1], s[4:5], 0x10
	v_mov_b32_e32 v1, 0
	s_add_u32 s6, s14, 8
	v_mov_b32_e32 v2, 0
	s_addc_u32 s7, s15, 0
	s_mov_b64 s[18:19], 1
	s_waitcnt lgkmcnt(0)
	s_add_u32 s16, s0, 8
	s_addc_u32 s17, s1, 0
.LBB0_2:                                ; =>This Inner Loop Header: Depth=1
	s_load_dwordx2 s[20:21], s[16:17], 0x0
                                        ; implicit-def: $vgpr7_vgpr8
	s_mov_b32 s0, exec_lo
	s_waitcnt lgkmcnt(0)
	v_or_b32_e32 v4, s21, v6
	v_cmpx_ne_u64_e32 0, v[3:4]
	s_xor_b32 s1, exec_lo, s0
	s_cbranch_execz .LBB0_4
; %bb.3:                                ;   in Loop: Header=BB0_2 Depth=1
	v_cvt_f32_u32_e32 v4, s20
	v_cvt_f32_u32_e32 v7, s21
	s_sub_u32 s0, 0, s20
	s_subb_u32 s22, 0, s21
	v_fmac_f32_e32 v4, 0x4f800000, v7
	v_rcp_f32_e32 v4, v4
	v_mul_f32_e32 v4, 0x5f7ffffc, v4
	v_mul_f32_e32 v7, 0x2f800000, v4
	v_trunc_f32_e32 v7, v7
	v_fmac_f32_e32 v4, 0xcf800000, v7
	v_cvt_u32_f32_e32 v7, v7
	v_cvt_u32_f32_e32 v4, v4
	v_mul_lo_u32 v8, s0, v7
	v_mul_hi_u32 v9, s0, v4
	v_mul_lo_u32 v10, s22, v4
	v_add_nc_u32_e32 v8, v9, v8
	v_mul_lo_u32 v9, s0, v4
	v_add_nc_u32_e32 v8, v8, v10
	v_mul_hi_u32 v10, v4, v9
	v_mul_lo_u32 v11, v4, v8
	v_mul_hi_u32 v12, v4, v8
	v_mul_hi_u32 v13, v7, v9
	v_mul_lo_u32 v9, v7, v9
	v_mul_hi_u32 v14, v7, v8
	v_mul_lo_u32 v8, v7, v8
	v_add_co_u32 v10, vcc_lo, v10, v11
	v_add_co_ci_u32_e32 v11, vcc_lo, 0, v12, vcc_lo
	v_add_co_u32 v9, vcc_lo, v10, v9
	v_add_co_ci_u32_e32 v9, vcc_lo, v11, v13, vcc_lo
	v_add_co_ci_u32_e32 v10, vcc_lo, 0, v14, vcc_lo
	v_add_co_u32 v8, vcc_lo, v9, v8
	v_add_co_ci_u32_e32 v9, vcc_lo, 0, v10, vcc_lo
	v_add_co_u32 v4, vcc_lo, v4, v8
	v_add_co_ci_u32_e32 v7, vcc_lo, v7, v9, vcc_lo
	v_mul_hi_u32 v8, s0, v4
	v_mul_lo_u32 v10, s22, v4
	v_mul_lo_u32 v9, s0, v7
	v_add_nc_u32_e32 v8, v8, v9
	v_mul_lo_u32 v9, s0, v4
	v_add_nc_u32_e32 v8, v8, v10
	v_mul_hi_u32 v10, v4, v9
	v_mul_lo_u32 v11, v4, v8
	v_mul_hi_u32 v12, v4, v8
	v_mul_hi_u32 v13, v7, v9
	v_mul_lo_u32 v9, v7, v9
	v_mul_hi_u32 v14, v7, v8
	v_mul_lo_u32 v8, v7, v8
	v_add_co_u32 v10, vcc_lo, v10, v11
	v_add_co_ci_u32_e32 v11, vcc_lo, 0, v12, vcc_lo
	v_add_co_u32 v9, vcc_lo, v10, v9
	v_add_co_ci_u32_e32 v9, vcc_lo, v11, v13, vcc_lo
	v_add_co_ci_u32_e32 v10, vcc_lo, 0, v14, vcc_lo
	v_add_co_u32 v8, vcc_lo, v9, v8
	v_add_co_ci_u32_e32 v9, vcc_lo, 0, v10, vcc_lo
	v_add_co_u32 v4, vcc_lo, v4, v8
	v_add_co_ci_u32_e32 v11, vcc_lo, v7, v9, vcc_lo
	v_mul_hi_u32 v13, v5, v4
	v_mad_u64_u32 v[9:10], null, v6, v4, 0
	v_mad_u64_u32 v[7:8], null, v5, v11, 0
	;; [unrolled: 1-line block ×3, first 2 shown]
	v_add_co_u32 v4, vcc_lo, v13, v7
	v_add_co_ci_u32_e32 v7, vcc_lo, 0, v8, vcc_lo
	v_add_co_u32 v4, vcc_lo, v4, v9
	v_add_co_ci_u32_e32 v4, vcc_lo, v7, v10, vcc_lo
	v_add_co_ci_u32_e32 v7, vcc_lo, 0, v12, vcc_lo
	v_add_co_u32 v4, vcc_lo, v4, v11
	v_add_co_ci_u32_e32 v9, vcc_lo, 0, v7, vcc_lo
	v_mul_lo_u32 v10, s21, v4
	v_mad_u64_u32 v[7:8], null, s20, v4, 0
	v_mul_lo_u32 v11, s20, v9
	v_sub_co_u32 v7, vcc_lo, v5, v7
	v_add3_u32 v8, v8, v11, v10
	v_sub_nc_u32_e32 v10, v6, v8
	v_subrev_co_ci_u32_e64 v10, s0, s21, v10, vcc_lo
	v_add_co_u32 v11, s0, v4, 2
	v_add_co_ci_u32_e64 v12, s0, 0, v9, s0
	v_sub_co_u32 v13, s0, v7, s20
	v_sub_co_ci_u32_e32 v8, vcc_lo, v6, v8, vcc_lo
	v_subrev_co_ci_u32_e64 v10, s0, 0, v10, s0
	v_cmp_le_u32_e32 vcc_lo, s20, v13
	v_cmp_eq_u32_e64 s0, s21, v8
	v_cndmask_b32_e64 v13, 0, -1, vcc_lo
	v_cmp_le_u32_e32 vcc_lo, s21, v10
	v_cndmask_b32_e64 v14, 0, -1, vcc_lo
	v_cmp_le_u32_e32 vcc_lo, s20, v7
	;; [unrolled: 2-line block ×3, first 2 shown]
	v_cndmask_b32_e64 v15, 0, -1, vcc_lo
	v_cmp_eq_u32_e32 vcc_lo, s21, v10
	v_cndmask_b32_e64 v7, v15, v7, s0
	v_cndmask_b32_e32 v10, v14, v13, vcc_lo
	v_add_co_u32 v13, vcc_lo, v4, 1
	v_add_co_ci_u32_e32 v14, vcc_lo, 0, v9, vcc_lo
	v_cmp_ne_u32_e32 vcc_lo, 0, v10
	v_cndmask_b32_e32 v8, v14, v12, vcc_lo
	v_cndmask_b32_e32 v10, v13, v11, vcc_lo
	v_cmp_ne_u32_e32 vcc_lo, 0, v7
	v_cndmask_b32_e32 v8, v9, v8, vcc_lo
	v_cndmask_b32_e32 v7, v4, v10, vcc_lo
.LBB0_4:                                ;   in Loop: Header=BB0_2 Depth=1
	s_andn2_saveexec_b32 s0, s1
	s_cbranch_execz .LBB0_6
; %bb.5:                                ;   in Loop: Header=BB0_2 Depth=1
	v_cvt_f32_u32_e32 v4, s20
	s_sub_i32 s1, 0, s20
	v_rcp_iflag_f32_e32 v4, v4
	v_mul_f32_e32 v4, 0x4f7ffffe, v4
	v_cvt_u32_f32_e32 v4, v4
	v_mul_lo_u32 v7, s1, v4
	v_mul_hi_u32 v7, v4, v7
	v_add_nc_u32_e32 v4, v4, v7
	v_mul_hi_u32 v4, v5, v4
	v_mul_lo_u32 v7, v4, s20
	v_add_nc_u32_e32 v8, 1, v4
	v_sub_nc_u32_e32 v7, v5, v7
	v_subrev_nc_u32_e32 v9, s20, v7
	v_cmp_le_u32_e32 vcc_lo, s20, v7
	v_cndmask_b32_e32 v7, v7, v9, vcc_lo
	v_cndmask_b32_e32 v4, v4, v8, vcc_lo
	v_cmp_le_u32_e32 vcc_lo, s20, v7
	v_add_nc_u32_e32 v8, 1, v4
	v_cndmask_b32_e32 v7, v4, v8, vcc_lo
	v_mov_b32_e32 v8, v3
.LBB0_6:                                ;   in Loop: Header=BB0_2 Depth=1
	s_or_b32 exec_lo, exec_lo, s0
	s_load_dwordx2 s[0:1], s[6:7], 0x0
	v_mul_lo_u32 v4, v8, s20
	v_mul_lo_u32 v11, v7, s21
	v_mad_u64_u32 v[9:10], null, v7, s20, 0
	s_add_u32 s18, s18, 1
	s_addc_u32 s19, s19, 0
	s_add_u32 s6, s6, 8
	s_addc_u32 s7, s7, 0
	s_add_u32 s16, s16, 8
	s_addc_u32 s17, s17, 0
	v_add3_u32 v4, v10, v11, v4
	v_sub_co_u32 v5, vcc_lo, v5, v9
	v_sub_co_ci_u32_e32 v4, vcc_lo, v6, v4, vcc_lo
	s_waitcnt lgkmcnt(0)
	v_mul_lo_u32 v6, s1, v5
	v_mul_lo_u32 v4, s0, v4
	v_mad_u64_u32 v[1:2], null, s0, v5, v[1:2]
	v_cmp_ge_u64_e64 s0, s[18:19], s[10:11]
	s_and_b32 vcc_lo, exec_lo, s0
	v_add3_u32 v2, v6, v2, v4
	s_cbranch_vccnz .LBB0_9
; %bb.7:                                ;   in Loop: Header=BB0_2 Depth=1
	v_mov_b32_e32 v5, v7
	v_mov_b32_e32 v6, v8
	s_branch .LBB0_2
.LBB0_8:
	v_mov_b32_e32 v8, v6
	v_mov_b32_e32 v7, v5
.LBB0_9:
	s_lshl_b64 s[0:1], s[10:11], 3
	v_mul_hi_u32 v3, 0x2d02d03, v0
	s_add_u32 s0, s14, s0
	s_addc_u32 s1, s15, s1
                                        ; implicit-def: $vgpr14_vgpr15
                                        ; implicit-def: $vgpr22_vgpr23
                                        ; implicit-def: $vgpr26_vgpr27
                                        ; implicit-def: $vgpr30_vgpr31
                                        ; implicit-def: $vgpr54_vgpr55
                                        ; implicit-def: $vgpr58_vgpr59
                                        ; implicit-def: $vgpr62_vgpr63
                                        ; implicit-def: $vgpr46_vgpr47
                                        ; implicit-def: $vgpr50_vgpr51
                                        ; implicit-def: $vgpr38_vgpr39
                                        ; implicit-def: $vgpr42_vgpr43
                                        ; implicit-def: $vgpr34_vgpr35
                                        ; implicit-def: $vgpr18_vgpr19
	s_load_dwordx2 s[0:1], s[0:1], 0x0
	s_load_dwordx2 s[4:5], s[4:5], 0x20
	v_mul_u32_u24_e32 v3, 0x5b, v3
	v_sub_nc_u32_e32 v186, v0, v3
	s_waitcnt lgkmcnt(0)
	v_mul_lo_u32 v4, s0, v8
	v_mul_lo_u32 v5, s1, v7
	v_mad_u64_u32 v[1:2], null, s0, v7, v[1:2]
	v_cmp_gt_u64_e32 vcc_lo, s[4:5], v[7:8]
	v_cmp_gt_u32_e64 s0, 0x46, v186
	s_and_b32 s1, vcc_lo, s0
	v_add3_u32 v2, v5, v2, v4
	v_lshlrev_b64 v[64:65], 4, v[1:2]
	s_and_saveexec_b32 s4, s1
	s_cbranch_execz .LBB0_11
; %bb.10:
	v_add_nc_u32_e32 v9, 0x46, v186
	v_mad_u64_u32 v[0:1], null, s2, v186, 0
	v_add_nc_u32_e32 v11, 0x8c, v186
	v_add_nc_u32_e32 v12, 0xd2, v186
	v_mad_u64_u32 v[2:3], null, s2, v9, 0
	v_add_co_u32 v22, s1, s12, v64
	v_mad_u64_u32 v[7:8], null, s2, v12, 0
	v_add_co_ci_u32_e64 v23, s1, s13, v65, s1
	v_mad_u64_u32 v[4:5], null, s3, v186, v[1:2]
	v_mov_b32_e32 v1, v3
	v_mad_u64_u32 v[5:6], null, s2, v11, 0
	v_add_nc_u32_e32 v13, 0x118, v186
	v_add_nc_u32_e32 v14, 0x1a4, v186
	v_mad_u64_u32 v[9:10], null, s3, v9, v[1:2]
	v_mov_b32_e32 v1, v4
	v_add_nc_u32_e32 v15, 0x1ea, v186
	v_mov_b32_e32 v4, v6
	v_mov_b32_e32 v6, v8
	v_add_nc_u32_e32 v20, 0x2bc, v186
	v_lshlrev_b64 v[0:1], 4, v[0:1]
	v_mov_b32_e32 v3, v9
	v_mad_u64_u32 v[8:9], null, s3, v11, v[4:5]
	v_mad_u64_u32 v[9:10], null, s3, v12, v[6:7]
	v_lshlrev_b64 v[2:3], 4, v[2:3]
	v_add_co_u32 v0, s1, v22, v0
	v_add_co_ci_u32_e64 v1, s1, v23, v1, s1
	v_mad_u64_u32 v[10:11], null, s2, v13, 0
	v_add_co_u32 v2, s1, v22, v2
	v_add_nc_u32_e32 v12, 0x15e, v186
	v_add_co_ci_u32_e64 v3, s1, v23, v3, s1
	v_mov_b32_e32 v6, v8
	s_clause 0x1
	global_load_dwordx4 v[16:19], v[0:1], off
	global_load_dwordx4 v[32:35], v[2:3], off
	v_mad_u64_u32 v[3:4], null, s2, v12, 0
	v_mov_b32_e32 v8, v9
	v_mov_b32_e32 v2, v11
	v_lshlrev_b64 v[0:1], 4, v[5:6]
	v_add_nc_u32_e32 v24, 0x302, v186
	v_add_nc_u32_e32 v25, 0x348, v186
	v_lshlrev_b64 v[5:6], 4, v[7:8]
	v_mad_u64_u32 v[7:8], null, s3, v13, v[2:3]
	v_add_co_u32 v0, s1, v22, v0
	v_mov_b32_e32 v2, v4
	v_add_co_ci_u32_e64 v1, s1, v23, v1, s1
	v_add_co_u32 v4, s1, v22, v5
	v_mad_u64_u32 v[8:9], null, s2, v14, 0
	v_add_co_ci_u32_e64 v5, s1, v23, v6, s1
	v_mov_b32_e32 v11, v7
	v_mad_u64_u32 v[6:7], null, s3, v12, v[2:3]
	v_mad_u64_u32 v[12:13], null, s2, v15, 0
	v_mov_b32_e32 v2, v9
	s_clause 0x1
	global_load_dwordx4 v[40:43], v[0:1], off
	global_load_dwordx4 v[36:39], v[4:5], off
	v_lshlrev_b64 v[0:1], 4, v[10:11]
	v_mov_b32_e32 v4, v6
	v_mad_u64_u32 v[9:10], null, s3, v14, v[2:3]
	v_mov_b32_e32 v2, v13
	v_add_nc_u32_e32 v10, 0x230, v186
	v_lshlrev_b64 v[3:4], 4, v[3:4]
	v_add_co_u32 v0, s1, v22, v0
	v_add_co_ci_u32_e64 v1, s1, v23, v1, s1
	v_add_nc_u32_e32 v14, 0x276, v186
	v_mad_u64_u32 v[5:6], null, s3, v15, v[2:3]
	v_lshlrev_b64 v[6:7], 4, v[8:9]
	v_mad_u64_u32 v[8:9], null, s2, v10, 0
	v_add_co_u32 v2, s1, v22, v3
	v_add_co_ci_u32_e64 v3, s1, v23, v4, s1
	v_mov_b32_e32 v13, v5
	s_clause 0x1
	global_load_dwordx4 v[48:51], v[0:1], off
	global_load_dwordx4 v[44:47], v[2:3], off
	v_mov_b32_e32 v2, v9
	v_add_co_u32 v0, s1, v22, v6
	v_lshlrev_b64 v[3:4], 4, v[12:13]
	v_add_co_ci_u32_e64 v1, s1, v23, v7, s1
	v_mad_u64_u32 v[12:13], null, s2, v24, 0
	v_mad_u64_u32 v[5:6], null, s3, v10, v[2:3]
	;; [unrolled: 1-line block ×4, first 2 shown]
	v_add_co_u32 v2, s1, v22, v3
	v_add_co_ci_u32_e64 v3, s1, v23, v4, s1
	v_mov_b32_e32 v9, v5
	v_mov_b32_e32 v4, v7
	;; [unrolled: 1-line block ×3, first 2 shown]
	s_clause 0x1
	global_load_dwordx4 v[60:63], v[0:1], off
	global_load_dwordx4 v[56:59], v[2:3], off
	v_mov_b32_e32 v0, v13
	v_lshlrev_b64 v[1:2], 4, v[8:9]
	v_mad_u64_u32 v[14:15], null, s3, v14, v[4:5]
	v_mad_u64_u32 v[4:5], null, s3, v20, v[5:6]
	;; [unrolled: 1-line block ×3, first 2 shown]
	v_mov_b32_e32 v7, v14
	v_mov_b32_e32 v11, v4
	v_mad_u64_u32 v[3:4], null, s3, v24, v[0:1]
	v_mov_b32_e32 v0, v21
	v_add_co_u32 v1, s1, v22, v1
	v_lshlrev_b64 v[4:5], 4, v[6:7]
	v_add_co_ci_u32_e64 v2, s1, v23, v2, s1
	v_mad_u64_u32 v[6:7], null, s3, v25, v[0:1]
	v_lshlrev_b64 v[7:8], 4, v[10:11]
	v_mov_b32_e32 v13, v3
	v_add_co_u32 v3, s1, v22, v4
	v_add_co_ci_u32_e64 v4, s1, v23, v5, s1
	v_mov_b32_e32 v21, v6
	v_lshlrev_b64 v[9:10], 4, v[12:13]
	v_add_co_u32 v5, s1, v22, v7
	v_add_co_ci_u32_e64 v6, s1, v23, v8, s1
	v_lshlrev_b64 v[7:8], 4, v[20:21]
	v_add_co_u32 v9, s1, v22, v9
	v_add_co_ci_u32_e64 v10, s1, v23, v10, s1
	v_add_co_u32 v7, s1, v22, v7
	v_add_co_ci_u32_e64 v8, s1, v23, v8, s1
	s_clause 0x4
	global_load_dwordx4 v[52:55], v[1:2], off
	global_load_dwordx4 v[28:31], v[3:4], off
	;; [unrolled: 1-line block ×5, first 2 shown]
.LBB0_11:
	s_or_b32 exec_lo, exec_lo, s4
	s_waitcnt vmcnt(0)
	v_add_f64 v[80:81], v[34:35], -v[14:15]
	v_add_f64 v[96:97], v[32:33], -v[12:13]
	s_mov_b32 s10, 0x4267c47c
	s_mov_b32 s11, 0xbfddbe06
	v_add_f64 v[84:85], v[12:13], v[32:33]
	v_add_f64 v[66:67], v[42:43], -v[22:23]
	v_add_f64 v[88:89], v[14:15], v[34:35]
	v_add_f64 v[78:79], v[40:41], -v[20:21]
	s_mov_b32 s6, 0xe00740e9
	s_mov_b32 s4, 0x42a4c3d2
	;; [unrolled: 1-line block ×4, first 2 shown]
	v_add_f64 v[68:69], v[20:21], v[40:41]
	v_add_f64 v[70:71], v[22:23], v[42:43]
	v_add_f64 v[76:77], v[38:39], -v[26:27]
	v_add_f64 v[82:83], v[36:37], -v[24:25]
	s_mov_b32 s14, 0x1ea71119
	s_mov_b32 s16, 0x66966769
	;; [unrolled: 1-line block ×4, first 2 shown]
	v_add_f64 v[126:127], v[24:25], v[36:37]
	v_add_f64 v[130:131], v[26:27], v[38:39]
	v_mul_f64 v[86:87], v[80:81], s[10:11]
	v_mul_f64 v[90:91], v[96:97], s[10:11]
	;; [unrolled: 1-line block ×4, first 2 shown]
	v_add_f64 v[92:93], v[50:51], -v[30:31]
	v_mul_f64 v[72:73], v[66:67], s[4:5]
	v_add_f64 v[140:141], v[48:49], -v[28:29]
	v_mul_f64 v[74:75], v[78:79], s[4:5]
	s_mov_b32 s20, 0x2ef20147
	s_mov_b32 s22, 0xebaa3ed8
	;; [unrolled: 1-line block ×4, first 2 shown]
	v_mul_f64 v[118:119], v[66:67], s[20:21]
	v_mul_f64 v[142:143], v[78:79], s[20:21]
	;; [unrolled: 1-line block ×4, first 2 shown]
	v_add_f64 v[116:117], v[28:29], v[48:49]
	v_add_f64 v[136:137], v[30:31], v[50:51]
	v_add_f64 v[94:95], v[46:47], -v[54:55]
	v_add_f64 v[114:115], v[44:45], -v[52:53]
	s_mov_b32 s26, 0xb2365da1
	s_mov_b32 s18, 0x4bc48dbf
	v_fma_f64 v[0:1], v[84:85], s[6:7], -v[86:87]
	v_fma_f64 v[2:3], v[88:89], s[6:7], v[90:91]
	v_fma_f64 v[8:9], v[84:85], s[14:15], -v[170:171]
	v_fma_f64 v[10:11], v[88:89], s[14:15], v[174:175]
	v_mul_f64 v[104:105], v[92:93], s[20:21]
	v_fma_f64 v[4:5], v[68:69], s[14:15], -v[72:73]
	v_mul_f64 v[112:113], v[140:141], s[20:21]
	v_fma_f64 v[6:7], v[70:71], s[14:15], v[74:75]
	s_mov_b32 s30, 0x24c2f84
	s_mov_b32 s27, 0xbfd6b1d8
	;; [unrolled: 1-line block ×6, first 2 shown]
	v_fma_f64 v[120:121], v[126:127], s[22:23], -v[102:103]
	v_fma_f64 v[128:129], v[130:131], s[22:23], v[106:107]
	v_mul_f64 v[132:133], v[76:77], s[18:19]
	v_mul_f64 v[144:145], v[82:83], s[18:19]
	v_add_f64 v[124:125], v[52:53], v[44:45]
	v_add_f64 v[100:101], v[54:55], v[46:47]
	v_add_f64 v[122:123], v[60:61], -v[56:57]
	v_mul_f64 v[108:109], v[94:95], s[40:41]
	v_add_f64 v[0:1], v[16:17], v[0:1]
	v_add_f64 v[2:3], v[18:19], v[2:3]
	v_mul_f64 v[110:111], v[114:115], s[40:41]
	v_add_f64 v[10:11], v[18:19], v[10:11]
	v_fma_f64 v[148:149], v[116:117], s[26:27], -v[104:105]
	v_mul_f64 v[182:183], v[80:81], s[16:17]
	v_fma_f64 v[150:151], v[136:137], s[26:27], v[112:113]
	v_mul_f64 v[184:185], v[96:97], s[16:17]
	s_mov_b32 s24, 0x93053d00
	s_mov_b32 s34, 0xd0032e0c
	;; [unrolled: 1-line block ×4, first 2 shown]
	v_add_f64 v[98:99], v[62:63], -v[58:59]
	v_mul_f64 v[138:139], v[92:93], s[30:31]
	v_mul_f64 v[156:157], v[140:141], s[30:31]
	;; [unrolled: 1-line block ×3, first 2 shown]
	v_fma_f64 v[158:159], v[126:127], s[24:25], -v[132:133]
	v_mul_f64 v[180:181], v[78:79], s[18:19]
	s_mov_b32 s29, 0x3fefc445
	s_mov_b32 s28, s16
	v_mul_f64 v[134:135], v[122:123], s[18:19]
	s_mov_b32 s39, 0x3fedeba7
	v_add_f64 v[0:1], v[4:5], v[0:1]
	v_add_f64 v[2:3], v[6:7], v[2:3]
	v_fma_f64 v[4:5], v[68:69], s[26:27], -v[118:119]
	v_add_f64 v[6:7], v[16:17], v[8:9]
	v_fma_f64 v[8:9], v[70:71], s[26:27], v[142:143]
	v_fma_f64 v[160:161], v[100:101], s[34:35], v[110:111]
	v_fma_f64 v[162:163], v[84:85], s[22:23], -v[182:183]
	v_fma_f64 v[164:165], v[88:89], s[22:23], v[184:185]
	s_mov_b32 s38, s20
	v_add_f64 v[152:153], v[56:57], v[60:61]
	v_mul_f64 v[146:147], v[94:95], s[28:29]
	v_mul_f64 v[154:155], v[114:115], s[28:29]
	;; [unrolled: 1-line block ×3, first 2 shown]
	v_fma_f64 v[172:173], v[116:117], s[34:35], -v[138:139]
	v_mul_f64 v[178:179], v[82:83], s[38:39]
	s_mov_b32 s37, 0x3fddbe06
	s_mov_b32 s36, s10
	v_and_b32_e32 v187, 1, v187
	v_cmp_eq_u32_e64 s1, 1, v187
	v_add_f64 v[0:1], v[120:121], v[0:1]
	v_add_f64 v[2:3], v[128:129], v[2:3]
	;; [unrolled: 1-line block ×3, first 2 shown]
	v_fma_f64 v[6:7], v[130:131], s[24:25], v[144:145]
	v_add_f64 v[8:9], v[8:9], v[10:11]
	v_add_f64 v[120:121], v[58:59], v[62:63]
	v_fma_f64 v[10:11], v[124:125], s[34:35], -v[108:109]
	v_mul_f64 v[128:129], v[98:99], s[18:19]
	v_add_f64 v[164:165], v[18:19], v[164:165]
	v_fma_f64 v[188:189], v[124:125], s[22:23], -v[146:147]
	v_fma_f64 v[190:191], v[100:101], s[22:23], v[154:155]
	v_cndmask_b32_e64 v187, 0, 0x38e, s1
	v_lshlrev_b32_e32 v187, 4, v187
	v_add_f64 v[0:1], v[148:149], v[0:1]
	v_add_f64 v[2:3], v[150:151], v[2:3]
	;; [unrolled: 1-line block ×3, first 2 shown]
	v_fma_f64 v[158:159], v[136:137], s[34:35], v[156:157]
	v_add_f64 v[6:7], v[6:7], v[8:9]
	v_fma_f64 v[176:177], v[120:121], s[24:25], v[134:135]
	v_mul_f64 v[148:149], v[98:99], s[36:37]
	v_mul_f64 v[150:151], v[122:123], s[36:37]
	v_fma_f64 v[8:9], v[152:153], s[24:25], -v[128:129]
	v_add_f64 v[0:1], v[10:11], v[0:1]
	v_add_f64 v[2:3], v[160:161], v[2:3]
	v_fma_f64 v[10:11], v[68:69], s[24:25], -v[168:169]
	v_add_f64 v[160:161], v[16:17], v[162:163]
	v_fma_f64 v[162:163], v[70:71], s[24:25], v[180:181]
	v_add_f64 v[4:5], v[172:173], v[4:5]
	v_add_f64 v[6:7], v[158:159], v[6:7]
	v_mul_f64 v[172:173], v[92:93], s[36:37]
	v_fma_f64 v[158:159], v[126:127], s[26:27], -v[166:167]
	v_add_f64 v[0:1], v[8:9], v[0:1]
	v_add_f64 v[2:3], v[176:177], v[2:3]
	v_mul_f64 v[176:177], v[140:141], s[36:37]
	v_add_f64 v[10:11], v[10:11], v[160:161]
	v_add_f64 v[162:163], v[162:163], v[164:165]
	v_fma_f64 v[164:165], v[130:131], s[26:27], v[178:179]
	v_fma_f64 v[8:9], v[152:153], s[6:7], -v[148:149]
	v_add_f64 v[4:5], v[188:189], v[4:5]
	v_fma_f64 v[188:189], v[120:121], s[6:7], v[150:151]
	v_add_f64 v[6:7], v[190:191], v[6:7]
	v_mul_f64 v[160:161], v[94:95], s[4:5]
	v_fma_f64 v[190:191], v[116:117], s[6:7], -v[172:173]
	v_fma_f64 v[192:193], v[136:137], s[6:7], v[176:177]
	v_add_f64 v[10:11], v[158:159], v[10:11]
	v_mul_f64 v[158:159], v[98:99], s[40:41]
	v_add_f64 v[162:163], v[164:165], v[162:163]
	v_mul_f64 v[164:165], v[114:115], s[4:5]
	v_add_f64 v[4:5], v[8:9], v[4:5]
	v_add_f64 v[6:7], v[188:189], v[6:7]
	;; [unrolled: 1-line block ×3, first 2 shown]
	v_fma_f64 v[10:11], v[124:125], s[14:15], -v[160:161]
	v_add_f64 v[162:163], v[192:193], v[162:163]
	v_fma_f64 v[188:189], v[100:101], s[14:15], v[164:165]
	v_add_f64 v[8:9], v[10:11], v[8:9]
	v_fma_f64 v[10:11], v[152:153], s[34:35], -v[158:159]
	v_add_f64 v[188:189], v[188:189], v[162:163]
	v_mul_f64 v[162:163], v[122:123], s[40:41]
	v_add_f64 v[8:9], v[10:11], v[8:9]
	v_fma_f64 v[10:11], v[120:121], s[34:35], v[162:163]
	v_add_f64 v[10:11], v[10:11], v[188:189]
	s_and_saveexec_b32 s33, s0
	s_cbranch_execz .LBB0_13
; %bb.12:
	v_add_f64 v[34:35], v[34:35], v[18:19]
	v_add_f64 v[32:33], v[32:33], v[16:17]
	s_mov_b32 s1, 0x3fcea1e5
	s_mov_b32 s0, s18
	;; [unrolled: 1-line block ×4, first 2 shown]
	v_add_f64 v[34:35], v[42:43], v[34:35]
	v_add_f64 v[32:33], v[40:41], v[32:33]
	v_mul_f64 v[40:41], v[84:85], s[26:27]
	v_mul_f64 v[42:43], v[88:89], s[14:15]
	v_add_f64 v[34:35], v[38:39], v[34:35]
	v_add_f64 v[32:33], v[36:37], v[32:33]
	v_mul_f64 v[36:37], v[84:85], s[24:25]
	v_mul_f64 v[38:39], v[84:85], s[34:35]
	v_add_f64 v[42:43], v[42:43], -v[174:175]
	v_add_f64 v[34:35], v[50:51], v[34:35]
	v_add_f64 v[32:33], v[48:49], v[32:33]
	v_mul_f64 v[48:49], v[84:85], s[22:23]
	v_mul_f64 v[50:51], v[96:97], s[40:41]
	v_fma_f64 v[188:189], v[80:81], s[0:1], v[36:37]
	v_fma_f64 v[36:37], v[80:81], s[18:19], v[36:37]
	v_add_f64 v[42:43], v[18:19], v[42:43]
	v_add_f64 v[34:35], v[46:47], v[34:35]
	;; [unrolled: 1-line block ×3, first 2 shown]
	v_mul_f64 v[44:45], v[88:89], s[22:23]
	v_mul_f64 v[46:47], v[96:97], s[18:19]
	;; [unrolled: 1-line block ×3, first 2 shown]
	v_add_f64 v[48:49], v[182:183], v[48:49]
	v_fma_f64 v[182:183], v[88:89], s[34:35], v[50:51]
	v_fma_f64 v[50:51], v[88:89], s[34:35], -v[50:51]
	v_add_f64 v[188:189], v[16:17], v[188:189]
	v_add_f64 v[36:37], v[16:17], v[36:37]
	;; [unrolled: 1-line block ×4, first 2 shown]
	v_fma_f64 v[60:61], v[80:81], s[30:31], v[38:39]
	v_fma_f64 v[38:39], v[80:81], s[40:41], v[38:39]
	;; [unrolled: 1-line block ×4, first 2 shown]
	v_mul_f64 v[80:81], v[84:85], s[14:15]
	v_add_f64 v[44:45], v[44:45], -v[184:185]
	v_fma_f64 v[184:185], v[88:89], s[24:25], v[46:47]
	v_fma_f64 v[46:47], v[88:89], s[24:25], -v[46:47]
	v_fma_f64 v[174:175], v[88:89], s[26:27], v[96:97]
	v_fma_f64 v[96:97], v[88:89], s[26:27], -v[96:97]
	v_mul_f64 v[88:89], v[88:89], s[6:7]
	v_mul_f64 v[84:85], v[84:85], s[6:7]
	v_add_f64 v[182:183], v[18:19], v[182:183]
	v_add_f64 v[50:51], v[18:19], v[50:51]
	;; [unrolled: 1-line block ×5, first 2 shown]
	v_mul_f64 v[56:57], v[78:79], s[28:29]
	v_add_f64 v[60:61], v[16:17], v[60:61]
	v_add_f64 v[38:39], v[16:17], v[38:39]
	;; [unrolled: 1-line block ×4, first 2 shown]
	v_mul_f64 v[170:171], v[78:79], s[36:37]
	v_add_f64 v[184:185], v[18:19], v[184:185]
	v_add_f64 v[46:47], v[18:19], v[46:47]
	;; [unrolled: 1-line block ×4, first 2 shown]
	v_add_f64 v[88:89], v[88:89], -v[90:91]
	v_mul_f64 v[90:91], v[70:71], s[24:25]
	v_add_f64 v[84:85], v[86:87], v[84:85]
	v_mul_f64 v[86:87], v[68:69], s[6:7]
	v_add_f64 v[40:41], v[16:17], v[40:41]
	v_add_f64 v[44:45], v[18:19], v[44:45]
	v_mul_f64 v[78:79], v[78:79], s[30:31]
	v_add_f64 v[34:35], v[54:55], v[34:35]
	;; [unrolled: 3-line block ×3, first 2 shown]
	v_fma_f64 v[58:59], v[70:71], s[6:7], v[170:171]
	v_fma_f64 v[170:171], v[70:71], s[6:7], -v[170:171]
	v_add_f64 v[18:19], v[18:19], v[88:89]
	v_add_f64 v[90:91], v[90:91], -v[180:181]
	v_add_f64 v[16:17], v[16:17], v[84:85]
	v_mul_f64 v[84:85], v[68:69], s[22:23]
	v_fma_f64 v[88:89], v[66:67], s[10:11], v[86:87]
	v_fma_f64 v[54:55], v[66:67], s[36:37], v[86:87]
	;; [unrolled: 1-line block ×3, first 2 shown]
	v_mul_f64 v[180:181], v[126:127], s[34:35]
	v_fma_f64 v[56:57], v[70:71], s[22:23], -v[56:57]
	v_add_f64 v[30:31], v[30:31], v[34:35]
	v_add_f64 v[28:29], v[28:29], v[32:33]
	;; [unrolled: 1-line block ×4, first 2 shown]
	v_fma_f64 v[170:171], v[130:131], s[34:35], v[52:53]
	v_fma_f64 v[52:53], v[130:131], s[34:35], -v[52:53]
	v_add_f64 v[44:45], v[90:91], v[44:45]
	v_mul_f64 v[90:91], v[130:131], s[22:23]
	v_fma_f64 v[184:185], v[66:67], s[16:17], v[84:85]
	v_add_f64 v[88:89], v[88:89], v[188:189]
	v_mul_f64 v[188:189], v[82:83], s[4:5]
	v_fma_f64 v[84:85], v[66:67], s[28:29], v[84:85]
	v_add_f64 v[36:37], v[54:55], v[36:37]
	v_mul_f64 v[54:55], v[126:127], s[14:15]
	v_add_f64 v[86:87], v[86:87], v[182:183]
	v_fma_f64 v[182:183], v[76:77], s[30:31], v[180:181]
	v_add_f64 v[50:51], v[56:57], v[50:51]
	v_fma_f64 v[180:181], v[76:77], s[40:41], v[180:181]
	v_mul_f64 v[82:83], v[82:83], s[36:37]
	v_add_f64 v[26:27], v[26:27], v[30:31]
	v_add_f64 v[24:25], v[24:25], v[28:29]
	;; [unrolled: 1-line block ×4, first 2 shown]
	v_mul_f64 v[52:53], v[116:117], s[24:25]
	v_add_f64 v[90:91], v[90:91], -v[106:107]
	v_add_f64 v[60:61], v[184:185], v[60:61]
	v_mul_f64 v[184:185], v[140:141], s[42:43]
	v_fma_f64 v[56:57], v[130:131], s[14:15], v[188:189]
	v_add_f64 v[38:39], v[84:85], v[38:39]
	v_mul_f64 v[84:85], v[116:117], s[14:15]
	v_fma_f64 v[170:171], v[76:77], s[42:43], v[54:55]
	v_fma_f64 v[188:189], v[130:131], s[14:15], -v[188:189]
	v_add_f64 v[88:89], v[182:183], v[88:89]
	v_mul_f64 v[182:183], v[140:141], s[0:1]
	v_fma_f64 v[54:55], v[76:77], s[4:5], v[54:55]
	v_add_f64 v[36:37], v[180:181], v[36:37]
	v_mul_f64 v[140:141], v[140:141], s[16:17]
	v_mul_f64 v[106:107], v[152:153], s[6:7]
	v_add_f64 v[24:25], v[20:21], v[24:25]
	v_fma_f64 v[180:181], v[136:137], s[14:15], v[184:185]
	v_add_f64 v[56:57], v[56:57], v[86:87]
	v_fma_f64 v[184:185], v[136:137], s[14:15], -v[184:185]
	v_fma_f64 v[86:87], v[92:93], s[4:5], v[84:85]
	v_add_f64 v[60:61], v[170:171], v[60:61]
	v_add_f64 v[50:51], v[188:189], v[50:51]
	v_mul_f64 v[170:171], v[114:115], s[20:21]
	v_fma_f64 v[188:189], v[136:137], s[24:25], v[182:183]
	v_add_f64 v[38:39], v[54:55], v[38:39]
	v_mul_f64 v[54:55], v[124:125], s[26:27]
	v_fma_f64 v[84:85], v[92:93], s[42:43], v[84:85]
	v_fma_f64 v[182:183], v[136:137], s[24:25], -v[182:183]
	v_add_f64 v[12:13], v[12:13], v[24:25]
	v_add_f64 v[58:59], v[180:181], v[58:59]
	v_mul_f64 v[180:181], v[114:115], s[36:37]
	v_add_f64 v[46:47], v[184:185], v[46:47]
	v_add_f64 v[86:87], v[86:87], v[88:89]
	v_fma_f64 v[88:89], v[92:93], s[18:19], v[52:53]
	v_mul_f64 v[184:185], v[124:125], s[6:7]
	v_fma_f64 v[52:53], v[92:93], s[0:1], v[52:53]
	v_add_f64 v[56:57], v[188:189], v[56:57]
	v_mul_f64 v[114:115], v[114:115], s[0:1]
	v_fma_f64 v[188:189], v[94:95], s[38:39], v[54:55]
	v_add_f64 v[36:37], v[84:85], v[36:37]
	v_fma_f64 v[84:85], v[100:101], s[26:27], v[170:171]
	v_fma_f64 v[54:55], v[94:95], s[20:21], v[54:55]
	v_fma_f64 v[170:171], v[100:101], s[26:27], -v[170:171]
	v_add_f64 v[50:51], v[182:183], v[50:51]
	v_fma_f64 v[182:183], v[100:101], s[6:7], v[180:181]
	v_fma_f64 v[180:181], v[100:101], s[6:7], -v[180:181]
	v_add_f64 v[60:61], v[88:89], v[60:61]
	v_mul_f64 v[88:89], v[68:69], s[34:35]
	v_add_f64 v[38:39], v[52:53], v[38:39]
	v_mul_f64 v[52:53], v[68:69], s[24:25]
	v_add_f64 v[86:87], v[188:189], v[86:87]
	v_fma_f64 v[188:189], v[70:71], s[34:35], -v[78:79]
	v_add_f64 v[58:59], v[84:85], v[58:59]
	v_fma_f64 v[84:85], v[94:95], s[10:11], v[184:185]
	v_fma_f64 v[78:79], v[70:71], s[34:35], v[78:79]
	v_add_f64 v[36:37], v[54:55], v[36:37]
	v_mul_f64 v[54:55], v[68:69], s[14:15]
	v_mul_f64 v[68:69], v[68:69], s[26:27]
	v_add_f64 v[46:47], v[170:171], v[46:47]
	v_mul_f64 v[170:171], v[130:131], s[26:27]
	v_fma_f64 v[184:185], v[94:95], s[36:37], v[184:185]
	v_add_f64 v[56:57], v[182:183], v[56:57]
	v_add_f64 v[50:51], v[180:181], v[50:51]
	v_mul_f64 v[180:181], v[126:127], s[6:7]
	v_fma_f64 v[182:183], v[66:67], s[40:41], v[88:89]
	v_fma_f64 v[66:67], v[66:67], s[30:31], v[88:89]
	v_mul_f64 v[88:89], v[126:127], s[22:23]
	v_add_f64 v[52:53], v[168:169], v[52:53]
	v_fma_f64 v[168:169], v[136:137], s[22:23], v[140:141]
	v_add_f64 v[96:97], v[188:189], v[96:97]
	v_mul_f64 v[188:189], v[70:71], s[26:27]
	v_mul_f64 v[70:71], v[70:71], s[14:15]
	v_add_f64 v[60:61], v[84:85], v[60:61]
	v_fma_f64 v[84:85], v[130:131], s[6:7], -v[82:83]
	v_fma_f64 v[82:83], v[130:131], s[6:7], v[82:83]
	v_mul_f64 v[130:131], v[130:131], s[24:25]
	v_add_f64 v[54:55], v[72:73], v[54:55]
	v_add_f64 v[78:79], v[78:79], v[174:175]
	v_mul_f64 v[174:175], v[126:127], s[24:25]
	v_add_f64 v[68:69], v[118:119], v[68:69]
	v_mul_f64 v[126:127], v[126:127], s[26:27]
	v_add_f64 v[170:171], v[170:171], -v[178:179]
	v_mul_f64 v[178:179], v[136:137], s[6:7]
	v_fma_f64 v[140:141], v[136:137], s[22:23], -v[140:141]
	v_mul_f64 v[72:73], v[124:125], s[14:15]
	v_mul_f64 v[118:119], v[122:123], s[28:29]
	v_add_f64 v[62:63], v[182:183], v[62:63]
	v_mul_f64 v[182:183], v[116:117], s[26:27]
	v_add_f64 v[88:89], v[102:103], v[88:89]
	v_add_f64 v[40:41], v[66:67], v[40:41]
	v_mul_f64 v[66:67], v[116:117], s[34:35]
	v_add_f64 v[48:49], v[52:53], v[48:49]
	v_add_f64 v[142:143], v[188:189], -v[142:143]
	v_add_f64 v[70:71], v[70:71], -v[74:75]
	v_fma_f64 v[188:189], v[76:77], s[10:11], v[180:181]
	v_fma_f64 v[76:77], v[76:77], s[36:37], v[180:181]
	v_mul_f64 v[180:181], v[136:137], s[26:27]
	v_mul_f64 v[136:137], v[136:137], s[34:35]
	v_add_f64 v[130:131], v[130:131], -v[144:145]
	v_add_f64 v[16:17], v[54:55], v[16:17]
	v_add_f64 v[84:85], v[84:85], v[96:97]
	v_mul_f64 v[96:97], v[116:117], s[6:7]
	v_add_f64 v[132:133], v[132:133], v[174:175]
	v_add_f64 v[68:69], v[68:69], v[80:81]
	v_add_f64 v[126:127], v[166:167], v[126:127]
	v_mul_f64 v[116:117], v[116:117], s[22:23]
	v_add_f64 v[176:177], v[178:179], -v[176:177]
	v_mul_f64 v[178:179], v[124:125], s[34:35]
	v_add_f64 v[44:45], v[170:171], v[44:45]
	v_mul_f64 v[170:171], v[100:101], s[34:35]
	v_mul_f64 v[144:145], v[100:101], s[22:23]
	v_add_f64 v[104:105], v[104:105], v[182:183]
	v_mul_f64 v[74:75], v[124:125], s[22:23]
	v_add_f64 v[66:67], v[138:139], v[66:67]
	v_add_f64 v[42:43], v[142:143], v[42:43]
	;; [unrolled: 1-line block ×3, first 2 shown]
	v_mul_f64 v[124:125], v[124:125], s[24:25]
	v_add_f64 v[40:41], v[76:77], v[40:41]
	v_add_f64 v[112:113], v[180:181], -v[112:113]
	v_add_f64 v[136:137], v[136:137], -v[156:157]
	v_add_f64 v[62:63], v[188:189], v[62:63]
	v_add_f64 v[16:17], v[88:89], v[16:17]
	v_mul_f64 v[166:167], v[152:153], s[24:25]
	v_add_f64 v[96:97], v[172:173], v[96:97]
	v_mul_f64 v[172:173], v[100:101], s[14:15]
	v_add_f64 v[32:33], v[132:133], v[68:69]
	v_add_f64 v[34:35], v[126:127], v[48:49]
	;; [unrolled: 1-line block ×3, first 2 shown]
	v_fma_f64 v[76:77], v[92:93], s[28:29], v[116:117]
	v_mul_f64 v[174:175], v[120:121], s[24:25]
	v_mul_f64 v[70:71], v[120:121], s[6:7]
	v_add_f64 v[110:111], v[170:171], -v[110:111]
	v_add_f64 v[108:109], v[108:109], v[178:179]
	v_mul_f64 v[142:143], v[152:153], s[22:23]
	v_add_f64 v[44:45], v[176:177], v[44:45]
	v_add_f64 v[74:75], v[146:147], v[74:75]
	;; [unrolled: 1-line block ×4, first 2 shown]
	v_fma_f64 v[90:91], v[92:93], s[16:17], v[116:117]
	v_add_f64 v[92:93], v[144:145], -v[154:155]
	v_mul_f64 v[102:103], v[152:153], s[34:35]
	v_mul_f64 v[54:55], v[120:121], s[34:35]
	v_fma_f64 v[78:79], v[100:101], s[24:25], -v[114:115]
	v_add_f64 v[16:17], v[104:105], v[16:17]
	v_add_f64 v[82:83], v[140:141], v[84:85]
	;; [unrolled: 1-line block ×3, first 2 shown]
	v_add_f64 v[88:89], v[172:173], -v[164:165]
	v_add_f64 v[28:29], v[66:67], v[32:33]
	v_add_f64 v[30:31], v[96:97], v[34:35]
	v_mul_f64 v[52:53], v[122:123], s[20:21]
	v_mul_f64 v[122:123], v[122:123], s[42:43]
	;; [unrolled: 1-line block ×3, first 2 shown]
	v_fma_f64 v[84:85], v[94:95], s[0:1], v[124:125]
	v_mul_f64 v[156:157], v[152:153], s[26:27]
	v_fma_f64 v[34:35], v[100:101], s[24:25], v[114:115]
	v_add_f64 v[62:63], v[76:77], v[62:63]
	v_add_f64 v[96:97], v[22:23], v[26:27]
	v_add_f64 v[70:71], v[70:71], -v[150:151]
	v_add_f64 v[42:43], v[136:137], v[42:43]
	v_add_f64 v[18:19], v[112:113], v[18:19]
	;; [unrolled: 1-line block ×4, first 2 shown]
	v_fma_f64 v[48:49], v[94:95], s[18:19], v[124:125]
	v_add_f64 v[90:91], v[174:175], -v[134:135]
	v_add_f64 v[94:95], v[128:129], v[166:167]
	v_add_f64 v[100:101], v[108:109], v[16:17]
	v_fma_f64 v[130:131], v[98:99], s[16:17], v[142:143]
	v_fma_f64 v[142:143], v[98:99], s[28:29], v[142:143]
	v_add_f64 v[44:45], v[88:89], v[44:45]
	v_add_f64 v[88:89], v[148:149], v[106:107]
	;; [unrolled: 1-line block ×4, first 2 shown]
	v_add_f64 v[54:55], v[54:55], -v[162:163]
	v_add_f64 v[82:83], v[158:159], v[102:103]
	v_add_f64 v[72:73], v[72:73], v[30:31]
	v_fma_f64 v[66:67], v[120:121], s[14:15], -v[122:123]
	v_fma_f64 v[78:79], v[98:99], s[42:43], v[68:69]
	v_fma_f64 v[138:139], v[120:121], s[26:27], v[52:53]
	;; [unrolled: 1-line block ×3, first 2 shown]
	v_fma_f64 v[52:53], v[120:121], s[26:27], -v[52:53]
	v_add_f64 v[42:43], v[92:93], v[42:43]
	v_add_f64 v[92:93], v[110:111], v[18:19]
	;; [unrolled: 1-line block ×3, first 2 shown]
	v_fma_f64 v[156:157], v[98:99], s[20:21], v[156:157]
	v_add_f64 v[84:85], v[184:185], v[38:39]
	v_fma_f64 v[80:81], v[120:121], s[22:23], v[118:119]
	v_fma_f64 v[118:119], v[120:121], s[22:23], -v[118:119]
	v_fma_f64 v[102:103], v[120:121], s[14:15], v[122:123]
	v_add_f64 v[104:105], v[34:35], v[40:41]
	v_fma_f64 v[68:69], v[98:99], s[4:5], v[68:69]
	v_add_f64 v[48:49], v[48:49], v[62:63]
	v_add_f64 v[14:15], v[14:15], v[96:97]
	;; [unrolled: 1-line block ×14, first 2 shown]
	v_mul_u32_u24_e32 v52, 0xd0, v186
	v_add_f64 v[24:25], v[156:157], v[84:85]
	v_add_f64 v[18:19], v[80:81], v[58:59]
	;; [unrolled: 1-line block ×5, first 2 shown]
	v_add3_u32 v52, 0, v52, v187
	v_add_f64 v[48:49], v[68:69], v[48:49]
	ds_write_b128 v52, v[12:15]
	ds_write_b128 v52, v[40:43] offset:16
	ds_write_b128 v52, v[36:39] offset:32
	;; [unrolled: 1-line block ×12, first 2 shown]
.LBB0_13:
	s_or_b32 exec_lo, exec_lo, s33
	v_add_nc_u32_e32 v56, 0x5b, v186
	v_and_b32_e32 v12, 0xff, v186
	v_add_nc_u32_e32 v57, 0xb6, v186
	v_mov_b32_e32 v14, 0x4ec5
	v_add_nc_u32_e32 v15, 0x111, v186
	v_and_b32_e32 v13, 0xff, v56
	v_mul_lo_u16 v63, 0x4f, v12
	v_add_nc_u32_e32 v58, 0x16c, v186
	v_mul_u32_u24_sdwa v12, v57, v14 dst_sel:DWORD dst_unused:UNUSED_PAD src0_sel:WORD_0 src1_sel:DWORD
	v_mov_b32_e32 v62, 4
	v_mul_lo_u16 v61, 0x4f, v13
	v_lshrrev_b16 v92, 10, v63
	v_mul_u32_u24_sdwa v13, v15, v14 dst_sel:DWORD dst_unused:UNUSED_PAD src0_sel:WORD_0 src1_sel:DWORD
	v_lshrrev_b32_e32 v94, 18, v12
	v_mul_u32_u24_sdwa v12, v58, v14 dst_sel:DWORD dst_unused:UNUSED_PAD src0_sel:WORD_0 src1_sel:DWORD
	v_lshrrev_b16 v93, 10, v61
	v_mul_lo_u16 v14, v92, 13
	v_lshrrev_b32_e32 v95, 18, v13
	v_mul_lo_u16 v13, v94, 13
	v_lshrrev_b32_e32 v96, 18, v12
	v_mul_lo_u16 v16, v93, 13
	v_sub_nc_u16 v12, v186, v14
	s_waitcnt lgkmcnt(0)
	v_sub_nc_u16 v13, v57, v13
	v_mul_lo_u16 v17, v96, 13
	v_sub_nc_u16 v14, v56, v16
	v_mul_lo_u16 v16, v95, 13
	v_lshlrev_b32_sdwa v97, v62, v12 dst_sel:DWORD dst_unused:UNUSED_PAD src0_sel:DWORD src1_sel:BYTE_0
	v_lshlrev_b32_sdwa v99, v62, v13 dst_sel:DWORD dst_unused:UNUSED_PAD src0_sel:DWORD src1_sel:WORD_0
	v_sub_nc_u16 v24, v58, v17
	v_lshlrev_b32_sdwa v98, v62, v14 dst_sel:DWORD dst_unused:UNUSED_PAD src0_sel:DWORD src1_sel:BYTE_0
	v_sub_nc_u16 v20, v15, v16
	s_barrier
	buffer_gl0_inv
	s_clause 0x1
	global_load_dwordx4 v[12:15], v97, s[8:9]
	global_load_dwordx4 v[16:19], v98, s[8:9]
	v_lshlrev_b32_sdwa v101, v62, v24 dst_sel:DWORD dst_unused:UNUSED_PAD src0_sel:DWORD src1_sel:WORD_0
	v_lshlrev_b32_sdwa v100, v62, v20 dst_sel:DWORD dst_unused:UNUSED_PAD src0_sel:DWORD src1_sel:WORD_0
	global_load_dwordx4 v[20:23], v99, s[8:9]
	v_lshlrev_b32_e32 v60, 4, v186
	v_cmp_gt_u32_e64 s0, 39, v186
	s_clause 0x1
	global_load_dwordx4 v[24:27], v100, s[8:9]
	global_load_dwordx4 v[28:31], v101, s[8:9]
	v_add3_u32 v59, 0, v60, v187
	ds_read_b128 v[32:35], v59 offset:7280
	ds_read_b128 v[36:39], v59 offset:10192
	;; [unrolled: 1-line block ×6, first 2 shown]
	v_add3_u32 v60, 0, v187, v60
	ds_read_b128 v[66:69], v60
	ds_read_b128 v[70:73], v59 offset:1456
	ds_read_b128 v[74:77], v59 offset:2912
	;; [unrolled: 1-line block ×3, first 2 shown]
	s_waitcnt vmcnt(0) lgkmcnt(0)
	s_barrier
	buffer_gl0_inv
	v_mul_f64 v[82:83], v[34:35], v[14:15]
	v_mul_f64 v[14:15], v[32:33], v[14:15]
	;; [unrolled: 1-line block ×10, first 2 shown]
	v_fma_f64 v[32:33], v[32:33], v[12:13], v[82:83]
	v_fma_f64 v[12:13], v[34:35], v[12:13], -v[14:15]
	v_fma_f64 v[34:35], v[40:41], v[16:17], v[86:87]
	v_fma_f64 v[16:17], v[42:43], v[16:17], -v[18:19]
	v_fma_f64 v[14:15], v[36:37], v[20:21], v[84:85]
	v_fma_f64 v[18:19], v[38:39], v[20:21], -v[22:23]
	v_and_b32_e32 v82, 0xffff, v92
	v_fma_f64 v[20:21], v[44:45], v[24:25], v[88:89]
	v_fma_f64 v[22:23], v[46:47], v[24:25], -v[26:27]
	v_fma_f64 v[36:37], v[48:49], v[28:29], v[90:91]
	v_fma_f64 v[38:39], v[50:51], v[28:29], -v[30:31]
	v_and_b32_e32 v83, 0xffff, v93
	v_add_f64 v[24:25], v[66:67], -v[32:33]
	v_add_f64 v[26:27], v[68:69], -v[12:13]
	;; [unrolled: 1-line block ×10, first 2 shown]
	v_fma_f64 v[36:37], v[66:67], 2.0, -v[24:25]
	v_fma_f64 v[38:39], v[68:69], 2.0, -v[26:27]
	;; [unrolled: 1-line block ×6, first 2 shown]
	v_mad_u32_u24 v66, 0x1a0, v83, 0
	v_fma_f64 v[48:49], v[78:79], 2.0, -v[12:13]
	v_fma_f64 v[50:51], v[80:81], 2.0, -v[14:15]
	;; [unrolled: 1-line block ×4, first 2 shown]
	v_mad_u32_u24 v52, 0x1a0, v82, 0
	v_mad_u32_u24 v53, 0x1a0, v94, 0
	;; [unrolled: 1-line block ×4, first 2 shown]
	v_add3_u32 v66, v66, v98, v187
	v_add3_u32 v52, v52, v97, v187
	;; [unrolled: 1-line block ×5, first 2 shown]
	ds_write_b128 v52, v[24:27] offset:208
	ds_write_b128 v52, v[36:39]
	ds_write_b128 v66, v[32:35] offset:208
	ds_write_b128 v66, v[44:47]
	ds_write_b128 v53, v[40:43]
	ds_write_b128 v53, v[28:31] offset:208
	ds_write_b128 v54, v[48:51]
	ds_write_b128 v54, v[12:15] offset:208
	;; [unrolled: 2-line block ×3, first 2 shown]
	s_waitcnt lgkmcnt(0)
	s_barrier
	buffer_gl0_inv
	ds_read_b128 v[28:31], v60
	ds_read_b128 v[48:51], v59 offset:2080
	ds_read_b128 v[44:47], v59 offset:4160
	ds_read_b128 v[36:39], v59 offset:6240
	ds_read_b128 v[32:35], v59 offset:8320
	ds_read_b128 v[40:43], v59 offset:10400
	ds_read_b128 v[52:55], v59 offset:12480
                                        ; implicit-def: $vgpr26_vgpr27
	s_and_saveexec_b32 s1, s0
	s_cbranch_execz .LBB0_15
; %bb.14:
	ds_read_b128 v[12:15], v59 offset:1456
	ds_read_b128 v[20:23], v59 offset:3536
	;; [unrolled: 1-line block ×7, first 2 shown]
.LBB0_15:
	s_or_b32 exec_lo, exec_lo, s1
	v_lshrrev_b16 v102, 11, v63
	v_mov_b32_e32 v63, 6
	s_mov_b32 s10, 0x37e14327
	s_mov_b32 s16, 0xe976ee23
	;; [unrolled: 1-line block ×3, first 2 shown]
	v_mul_lo_u16 v66, v102, 26
	s_mov_b32 s17, 0x3fe11646
	s_mov_b32 s6, 0x429ad128
	;; [unrolled: 1-line block ×4, first 2 shown]
	v_sub_nc_u16 v103, v186, v66
	s_mov_b32 s5, 0x3fac98ee
	s_mov_b32 s14, 0xaaaaaaaa
	;; [unrolled: 1-line block ×4, first 2 shown]
	v_mul_u32_u24_sdwa v66, v103, v63 dst_sel:DWORD dst_unused:UNUSED_PAD src0_sel:BYTE_0 src1_sel:DWORD
	s_mov_b32 s18, 0x5476071b
	s_mov_b32 s23, 0xbfd5d0dc
	s_mov_b32 s19, 0x3fe77f67
	s_mov_b32 s21, 0xbfe77f67
	v_lshlrev_b32_e32 v86, 4, v66
	s_mov_b32 s25, 0x3fd5d0dc
	s_mov_b32 s20, s18
	;; [unrolled: 1-line block ×4, first 2 shown]
	s_clause 0x5
	global_load_dwordx4 v[66:69], v86, s[8:9] offset:208
	global_load_dwordx4 v[70:73], v86, s[8:9] offset:224
	;; [unrolled: 1-line block ×6, first 2 shown]
	s_mov_b32 s27, 0xbfdc38aa
	v_lshlrev_b32_sdwa v62, v62, v103 dst_sel:DWORD dst_unused:UNUSED_PAD src0_sel:DWORD src1_sel:BYTE_0
	s_waitcnt vmcnt(0) lgkmcnt(0)
	s_barrier
	buffer_gl0_inv
	v_mul_f64 v[90:91], v[50:51], v[68:69]
	v_mul_f64 v[68:69], v[48:49], v[68:69]
	;; [unrolled: 1-line block ×12, first 2 shown]
	v_fma_f64 v[48:49], v[48:49], v[66:67], v[90:91]
	v_fma_f64 v[50:51], v[50:51], v[66:67], -v[68:69]
	v_fma_f64 v[44:45], v[44:45], v[70:71], v[92:93]
	v_fma_f64 v[46:47], v[46:47], v[70:71], -v[72:73]
	;; [unrolled: 2-line block ×6, first 2 shown]
	v_add_f64 v[66:67], v[48:49], v[52:53]
	v_add_f64 v[68:69], v[50:51], v[54:55]
	;; [unrolled: 1-line block ×4, first 2 shown]
	v_add_f64 v[40:41], v[44:45], -v[40:41]
	v_add_f64 v[42:43], v[46:47], -v[42:43]
	v_add_f64 v[44:45], v[36:37], v[32:33]
	v_add_f64 v[46:47], v[38:39], v[34:35]
	v_add_f64 v[32:33], v[32:33], -v[36:37]
	v_add_f64 v[34:35], v[34:35], -v[38:39]
	;; [unrolled: 1-line block ×4, first 2 shown]
	v_add_f64 v[48:49], v[70:71], v[66:67]
	v_add_f64 v[50:51], v[72:73], v[68:69]
	v_add_f64 v[52:53], v[66:67], -v[44:45]
	v_add_f64 v[54:55], v[68:69], -v[46:47]
	;; [unrolled: 1-line block ×6, first 2 shown]
	v_add_f64 v[40:41], v[32:33], v[40:41]
	v_add_f64 v[42:43], v[34:35], v[42:43]
	v_add_f64 v[32:33], v[36:37], -v[32:33]
	v_add_f64 v[34:35], v[38:39], -v[34:35]
	;; [unrolled: 1-line block ×4, first 2 shown]
	v_add_f64 v[48:49], v[44:45], v[48:49]
	v_add_f64 v[50:51], v[46:47], v[50:51]
	v_add_f64 v[44:45], v[44:45], -v[70:71]
	v_add_f64 v[46:47], v[46:47], -v[72:73]
	v_mul_f64 v[52:53], v[52:53], s[10:11]
	v_mul_f64 v[54:55], v[54:55], s[10:11]
	;; [unrolled: 1-line block ×6, first 2 shown]
	v_add_f64 v[36:37], v[40:41], v[36:37]
	v_add_f64 v[38:39], v[42:43], v[38:39]
	v_add_f64 v[28:29], v[28:29], v[48:49]
	v_add_f64 v[30:31], v[30:31], v[50:51]
	v_mul_f64 v[70:71], v[44:45], s[4:5]
	v_mul_f64 v[72:73], v[46:47], s[4:5]
	v_fma_f64 v[40:41], v[44:45], s[4:5], v[52:53]
	v_fma_f64 v[42:43], v[46:47], s[4:5], v[54:55]
	;; [unrolled: 1-line block ×4, first 2 shown]
	v_fma_f64 v[74:75], v[78:79], s[6:7], -v[74:75]
	v_fma_f64 v[76:77], v[80:81], s[6:7], -v[76:77]
	v_fma_f64 v[32:33], v[32:33], s[24:25], -v[82:83]
	v_fma_f64 v[34:35], v[34:35], s[24:25], -v[84:85]
	v_fma_f64 v[52:53], v[66:67], s[20:21], -v[52:53]
	v_fma_f64 v[54:55], v[68:69], s[20:21], -v[54:55]
	v_fma_f64 v[48:49], v[48:49], s[14:15], v[28:29]
	v_fma_f64 v[50:51], v[50:51], s[14:15], v[30:31]
	v_fma_f64 v[66:67], v[66:67], s[18:19], -v[70:71]
	v_fma_f64 v[68:69], v[68:69], s[18:19], -v[72:73]
	v_fma_f64 v[70:71], v[36:37], s[26:27], v[44:45]
	v_fma_f64 v[72:73], v[38:39], s[26:27], v[46:47]
	;; [unrolled: 1-line block ×6, first 2 shown]
	v_add_f64 v[78:79], v[40:41], v[48:49]
	v_add_f64 v[80:81], v[42:43], v[50:51]
	;; [unrolled: 1-line block ×6, first 2 shown]
	v_and_b32_e32 v66, 0xffff, v102
	v_mad_u32_u24 v66, 0xb60, v66, 0
	v_add3_u32 v62, v66, v62, v187
	v_add_f64 v[32:33], v[72:73], v[78:79]
	v_add_f64 v[34:35], v[80:81], -v[70:71]
	v_add_f64 v[36:37], v[76:77], v[52:53]
	v_add_f64 v[38:39], v[54:55], -v[74:75]
	v_add_f64 v[40:41], v[48:49], -v[44:45]
	v_add_f64 v[42:43], v[46:47], v[50:51]
	v_add_f64 v[44:45], v[44:45], v[48:49]
	v_add_f64 v[46:47], v[50:51], -v[46:47]
	v_add_f64 v[48:49], v[52:53], -v[76:77]
	v_add_f64 v[50:51], v[74:75], v[54:55]
	v_add_f64 v[52:53], v[78:79], -v[72:73]
	v_add_f64 v[54:55], v[70:71], v[80:81]
	ds_write_b128 v62, v[28:31]
	ds_write_b128 v62, v[32:35] offset:416
	ds_write_b128 v62, v[36:39] offset:832
	;; [unrolled: 1-line block ×6, first 2 shown]
	s_and_saveexec_b32 s1, s0
	s_cbranch_execz .LBB0_17
; %bb.16:
	v_lshrrev_b16 v72, 11, v61
	v_mul_lo_u16 v28, v72, 26
	v_sub_nc_u16 v73, v56, v28
	v_mul_u32_u24_sdwa v28, v73, v63 dst_sel:DWORD dst_unused:UNUSED_PAD src0_sel:BYTE_0 src1_sel:DWORD
	v_lshlrev_b32_e32 v48, 4, v28
	s_clause 0x5
	global_load_dwordx4 v[28:31], v48, s[8:9] offset:224
	global_load_dwordx4 v[32:35], v48, s[8:9] offset:272
	;; [unrolled: 1-line block ×6, first 2 shown]
	s_waitcnt vmcnt(5)
	v_mul_f64 v[52:53], v[16:17], v[30:31]
	s_waitcnt vmcnt(4)
	v_mul_f64 v[54:55], v[0:1], v[34:35]
	;; [unrolled: 2-line block ×4, first 2 shown]
	v_mul_f64 v[30:31], v[18:19], v[30:31]
	v_mul_f64 v[34:35], v[2:3], v[34:35]
	;; [unrolled: 1-line block ×4, first 2 shown]
	s_waitcnt vmcnt(1)
	v_mul_f64 v[68:69], v[6:7], v[46:47]
	s_waitcnt vmcnt(0)
	v_mul_f64 v[70:71], v[10:11], v[50:51]
	v_mul_f64 v[50:51], v[8:9], v[50:51]
	v_mul_f64 v[46:47], v[4:5], v[46:47]
	v_fma_f64 v[18:19], v[18:19], v[28:29], -v[52:53]
	v_fma_f64 v[2:3], v[2:3], v[32:33], -v[54:55]
	;; [unrolled: 1-line block ×4, first 2 shown]
	v_fma_f64 v[16:17], v[16:17], v[28:29], v[30:31]
	v_fma_f64 v[0:1], v[0:1], v[32:33], v[34:35]
	;; [unrolled: 1-line block ×6, first 2 shown]
	v_fma_f64 v[10:11], v[10:11], v[48:49], -v[50:51]
	v_fma_f64 v[6:7], v[6:7], v[44:45], -v[46:47]
	v_add_f64 v[28:29], v[18:19], v[2:3]
	v_add_f64 v[2:3], v[18:19], -v[2:3]
	v_add_f64 v[30:31], v[22:23], v[26:27]
	v_add_f64 v[32:33], v[16:17], v[0:1]
	v_add_f64 v[0:1], v[16:17], -v[0:1]
	v_add_f64 v[34:35], v[20:21], v[24:25]
	v_add_f64 v[36:37], v[4:5], -v[8:9]
	v_add_f64 v[4:5], v[8:9], v[4:5]
	v_add_f64 v[16:17], v[10:11], v[6:7]
	v_add_f64 v[8:9], v[20:21], -v[24:25]
	v_add_f64 v[6:7], v[6:7], -v[10:11]
	v_add_f64 v[10:11], v[22:23], -v[26:27]
	v_add_f64 v[20:21], v[28:29], v[30:31]
	v_add_f64 v[18:19], v[32:33], v[34:35]
	v_add_f64 v[22:23], v[36:37], -v[0:1]
	v_add_f64 v[26:27], v[34:35], -v[4:5]
	;; [unrolled: 1-line block ×6, first 2 shown]
	v_add_f64 v[44:45], v[36:37], v[0:1]
	v_add_f64 v[36:37], v[8:9], -v[36:37]
	v_add_f64 v[46:47], v[6:7], v[2:3]
	v_add_f64 v[6:7], v[10:11], -v[6:7]
	;; [unrolled: 2-line block ×4, first 2 shown]
	v_mul_f64 v[22:23], v[22:23], s[16:17]
	v_mul_f64 v[26:27], v[26:27], s[10:11]
	;; [unrolled: 1-line block ×4, first 2 shown]
	v_add_f64 v[8:9], v[44:45], v[8:9]
	v_add_f64 v[10:11], v[46:47], v[10:11]
	;; [unrolled: 1-line block ×3, first 2 shown]
	v_add_f64 v[14:15], v[28:29], -v[30:31]
	v_mul_f64 v[28:29], v[16:17], s[4:5]
	v_mul_f64 v[30:31], v[40:41], s[16:17]
	v_add_f64 v[0:1], v[12:13], v[18:19]
	v_mul_f64 v[40:41], v[42:43], s[6:7]
	v_add_f64 v[12:13], v[32:33], -v[34:35]
	v_mul_f64 v[32:33], v[4:5], s[4:5]
	v_fma_f64 v[34:35], v[36:37], s[22:23], v[22:23]
	v_fma_f64 v[16:17], v[16:17], s[4:5], v[24:25]
	;; [unrolled: 1-line block ×3, first 2 shown]
	v_fma_f64 v[36:37], v[36:37], s[24:25], -v[48:49]
	v_fma_f64 v[22:23], v[38:39], s[6:7], -v[22:23]
	v_fma_f64 v[20:21], v[20:21], s[14:15], v[2:3]
	v_fma_f64 v[24:25], v[14:15], s[20:21], -v[24:25]
	v_fma_f64 v[14:15], v[14:15], s[18:19], -v[28:29]
	v_fma_f64 v[28:29], v[6:7], s[22:23], v[30:31]
	v_fma_f64 v[18:19], v[18:19], s[14:15], v[0:1]
	v_fma_f64 v[6:7], v[6:7], s[24:25], -v[40:41]
	v_fma_f64 v[26:27], v[12:13], s[20:21], -v[26:27]
	;; [unrolled: 1-line block ×4, first 2 shown]
	v_fma_f64 v[32:33], v[8:9], s[26:27], v[34:35]
	v_and_b32_e32 v40, 0xffff, v72
	v_fma_f64 v[34:35], v[8:9], s[26:27], v[36:37]
	v_fma_f64 v[8:9], v[8:9], s[26:27], v[22:23]
	v_add_f64 v[16:17], v[16:17], v[20:21]
	v_add_f64 v[22:23], v[24:25], v[20:21]
	;; [unrolled: 1-line block ×3, first 2 shown]
	v_fma_f64 v[28:29], v[10:11], s[26:27], v[28:29]
	v_add_f64 v[4:5], v[4:5], v[18:19]
	v_fma_f64 v[36:37], v[10:11], s[26:27], v[6:7]
	v_add_f64 v[38:39], v[26:27], v[18:19]
	;; [unrolled: 2-line block ×3, first 2 shown]
	v_add_f64 v[26:27], v[16:17], -v[32:33]
	v_add_f64 v[10:11], v[34:35], v[22:23]
	v_add_f64 v[14:15], v[20:21], -v[8:9]
	v_add_f64 v[18:19], v[8:9], v[20:21]
	v_add_f64 v[24:25], v[28:29], v[4:5]
	v_add_f64 v[22:23], v[22:23], -v[34:35]
	v_add_f64 v[20:21], v[36:37], v[38:39]
	;; [unrolled: 3-line block ×3, first 2 shown]
	v_add_f64 v[8:9], v[38:39], -v[36:37]
	v_add_f64 v[4:5], v[4:5], -v[28:29]
	v_mov_b32_e32 v28, 4
	v_mad_u32_u24 v29, 0xb60, v40, 0
	v_lshlrev_b32_sdwa v28, v28, v73 dst_sel:DWORD dst_unused:UNUSED_PAD src0_sel:DWORD src1_sel:BYTE_0
	v_add3_u32 v28, v29, v28, v187
	ds_write_b128 v28, v[0:3]
	ds_write_b128 v28, v[24:27] offset:416
	ds_write_b128 v28, v[20:23] offset:832
	;; [unrolled: 1-line block ×6, first 2 shown]
.LBB0_17:
	s_or_b32 exec_lo, exec_lo, s1
	s_waitcnt lgkmcnt(0)
	s_barrier
	buffer_gl0_inv
	s_and_saveexec_b32 s0, vcc_lo
	s_cbranch_execz .LBB0_19
; %bb.18:
	v_lshlrev_b32_e32 v0, 2, v56
	v_mov_b32_e32 v1, 0
	v_mad_u64_u32 v[78:79], null, s2, v186, 0
	v_lshrrev_b32_e32 v86, 1, v56
	v_mad_u64_u32 v[80:81], null, s2, v58, 0
	v_lshlrev_b64 v[2:3], 4, v[0:1]
	v_lshlrev_b32_e32 v0, 2, v186
	v_add_nc_u32_e32 v89, 0x222, v186
	v_add_nc_u32_e32 v90, 0x2d8, v186
	v_mul_hi_u32 v91, 0xb40b40b5, v86
	s_mov_b32 s11, 0xbfee6f0e
	v_add_co_u32 v2, vcc_lo, s8, v2
	v_add_co_ci_u32_e32 v3, vcc_lo, s9, v3, vcc_lo
	v_lshlrev_b64 v[8:9], 4, v[0:1]
	v_add_co_u32 v12, vcc_lo, 0xa90, v2
	v_add_co_ci_u32_e32 v13, vcc_lo, 0, v3, vcc_lo
	v_add_co_u32 v10, vcc_lo, 0x800, v2
	v_add_co_ci_u32_e32 v11, vcc_lo, 0, v3, vcc_lo
	;; [unrolled: 2-line block ×3, first 2 shown]
	s_clause 0x1
	global_load_dwordx4 v[0:3], v[12:13], off offset:32
	global_load_dwordx4 v[4:7], v[12:13], off offset:16
	v_add_co_u32 v28, vcc_lo, 0xa90, v16
	v_add_co_ci_u32_e32 v29, vcc_lo, 0, v17, vcc_lo
	v_add_co_u32 v20, vcc_lo, 0x800, v16
	v_add_co_ci_u32_e32 v21, vcc_lo, 0, v17, vcc_lo
	s_clause 0x5
	global_load_dwordx4 v[8:11], v[10:11], off offset:656
	global_load_dwordx4 v[12:15], v[12:13], off offset:48
	;; [unrolled: 1-line block ×6, first 2 shown]
	ds_read_b128 v[32:35], v59 offset:7280
	ds_read_b128 v[36:39], v59 offset:5824
	;; [unrolled: 1-line block ×9, first 2 shown]
	ds_read_b128 v[59:62], v60
	v_add_co_u32 v122, vcc_lo, s12, v64
	v_mad_u64_u32 v[63:64], null, s2, v57, 0
	v_add_co_ci_u32_e32 v123, vcc_lo, s13, v65, vcc_lo
	v_mad_u64_u32 v[82:83], null, s2, v89, 0
	v_mad_u64_u32 v[84:85], null, s2, v90, 0
	v_mov_b32_e32 v65, v79
	v_mov_b32_e32 v79, v81
	s_mov_b32 s8, 0x134454ff
	s_mov_b32 s9, 0x3fee6f0e
	;; [unrolled: 1-line block ×4, first 2 shown]
	s_waitcnt lgkmcnt(3)
	v_mad_u64_u32 v[86:87], null, s3, v186, v[65:66]
	v_mad_u64_u32 v[64:65], null, s3, v57, v[64:65]
	v_lshrrev_b32_e32 v65, 6, v91
	v_mov_b32_e32 v57, v83
	v_mad_u64_u32 v[87:88], null, s3, v58, v[79:80]
	v_mov_b32_e32 v58, v85
	v_mad_u32_u24 v65, 0x2d8, v65, v56
	v_mov_b32_e32 v79, v86
	v_lshlrev_b64 v[63:64], 4, v[63:64]
	s_mov_b32 s5, 0xbfe2cf23
	v_mad_u64_u32 v[88:89], null, s3, v89, v[57:58]
	v_mov_b32_e32 v81, v87
	v_mad_u64_u32 v[86:87], null, s2, v65, 0
	v_add_nc_u32_e32 v97, 0x16c, v65
	s_waitcnt lgkmcnt(0)
	v_mad_u64_u32 v[57:58], null, s3, v90, v[58:59]
	v_add_nc_u32_e32 v98, 0x222, v65
	v_add_nc_u32_e32 v96, 0xb6, v65
	v_mov_b32_e32 v83, v88
	v_mad_u64_u32 v[88:89], null, s2, v97, 0
	v_mad_u64_u32 v[90:91], null, s2, v98, 0
	v_mov_b32_e32 v58, v87
	v_add_nc_u32_e32 v106, 0x2d8, v65
	v_mov_b32_e32 v85, v57
	v_mad_u64_u32 v[56:57], null, s2, v96, 0
	v_mad_u64_u32 v[94:95], null, s3, v65, v[58:59]
	v_mov_b32_e32 v58, v89
	v_mad_u64_u32 v[92:93], null, s2, v106, 0
	v_mov_b32_e32 v65, v91
	v_lshlrev_b64 v[78:79], 4, v[78:79]
	v_mad_u64_u32 v[95:96], null, s3, v96, v[57:58]
	v_mad_u64_u32 v[96:97], null, s3, v97, v[58:59]
	;; [unrolled: 1-line block ×3, first 2 shown]
	v_mov_b32_e32 v87, v93
	v_lshlrev_b64 v[80:81], 4, v[80:81]
	v_mov_b32_e32 v57, v95
	v_add_co_u32 v78, vcc_lo, v122, v78
	v_mad_u64_u32 v[106:107], null, s3, v106, v[87:88]
	v_mov_b32_e32 v87, v94
	v_mov_b32_e32 v89, v96
	;; [unrolled: 1-line block ×3, first 2 shown]
	v_add_co_ci_u32_e32 v79, vcc_lo, v123, v79, vcc_lo
	v_lshlrev_b64 v[82:83], 4, v[82:83]
	v_add_co_u32 v63, vcc_lo, v122, v63
	v_add_co_ci_u32_e32 v64, vcc_lo, v123, v64, vcc_lo
	v_lshlrev_b64 v[84:85], 4, v[84:85]
	v_add_co_u32 v80, vcc_lo, v122, v80
	v_add_co_ci_u32_e32 v81, vcc_lo, v123, v81, vcc_lo
	v_add_co_u32 v82, vcc_lo, v122, v82
	v_add_co_ci_u32_e32 v83, vcc_lo, v123, v83, vcc_lo
	;; [unrolled: 2-line block ×3, first 2 shown]
	v_mov_b32_e32 v93, v106
	s_mov_b32 s7, 0x3fe2cf23
	s_mov_b32 s6, s4
	;; [unrolled: 1-line block ×4, first 2 shown]
	s_waitcnt vmcnt(7)
	v_mul_f64 v[102:103], v[2:3], v[48:49]
	s_waitcnt vmcnt(6)
	v_mul_f64 v[98:99], v[6:7], v[32:33]
	v_mul_f64 v[32:33], v[4:5], v[32:33]
	;; [unrolled: 1-line block ×3, first 2 shown]
	s_waitcnt vmcnt(5)
	v_mul_f64 v[100:101], v[10:11], v[40:41]
	s_waitcnt vmcnt(4)
	v_mul_f64 v[104:105], v[14:15], v[66:67]
	;; [unrolled: 2-line block ×6, first 2 shown]
	v_mul_f64 v[36:37], v[16:17], v[36:37]
	v_mul_f64 v[52:53], v[24:25], v[52:53]
	;; [unrolled: 1-line block ×6, first 2 shown]
	v_fma_f64 v[0:1], v[0:1], v[50:51], -v[102:103]
	v_fma_f64 v[4:5], v[4:5], v[34:35], -v[98:99]
	v_fma_f64 v[6:7], v[34:35], v[6:7], v[32:33]
	v_fma_f64 v[2:3], v[50:51], v[2:3], v[48:49]
	v_lshlrev_b64 v[32:33], 4, v[86:87]
	v_lshlrev_b64 v[34:35], 4, v[56:57]
	;; [unrolled: 1-line block ×3, first 2 shown]
	v_fma_f64 v[8:9], v[8:9], v[42:43], -v[100:101]
	v_fma_f64 v[12:13], v[12:13], v[68:69], -v[104:105]
	;; [unrolled: 1-line block ×6, first 2 shown]
	v_fma_f64 v[18:19], v[38:39], v[18:19], v[36:37]
	v_fma_f64 v[26:27], v[54:55], v[26:27], v[52:53]
	v_fma_f64 v[22:23], v[46:47], v[22:23], v[44:45]
	v_fma_f64 v[30:31], v[72:73], v[30:31], v[70:71]
	v_fma_f64 v[10:11], v[42:43], v[10:11], v[40:41]
	v_fma_f64 v[14:15], v[68:69], v[14:15], v[65:66]
	v_lshlrev_b64 v[42:43], 4, v[90:91]
	v_add_co_u32 v44, vcc_lo, v122, v32
	v_add_f64 v[56:57], v[4:5], v[0:1]
	v_add_co_ci_u32_e32 v45, vcc_lo, v123, v33, vcc_lo
	v_add_f64 v[96:97], v[6:7], v[2:3]
	v_lshlrev_b64 v[40:41], 4, v[88:89]
	v_add_f64 v[38:39], v[6:7], -v[2:3]
	v_add_f64 v[86:87], v[4:5], -v[0:1]
	;; [unrolled: 1-line block ×3, first 2 shown]
	v_add_f64 v[46:47], v[8:9], v[12:13]
	v_add_f64 v[36:37], v[0:1], -v[12:13]
	v_add_f64 v[52:53], v[8:9], -v[4:5]
	v_add_f64 v[94:95], v[16:17], v[24:25]
	v_add_f64 v[90:91], v[20:21], v[28:29]
	v_add_f64 v[54:55], v[12:13], -v[0:1]
	v_add_f64 v[98:99], v[18:19], v[26:27]
	v_add_f64 v[65:66], v[8:9], v[76:77]
	;; [unrolled: 1-line block ×3, first 2 shown]
	v_add_f64 v[67:68], v[6:7], -v[10:11]
	v_add_f64 v[71:72], v[10:11], v[14:15]
	v_add_f64 v[50:51], v[10:11], -v[14:15]
	v_add_f64 v[88:89], v[10:11], -v[6:7]
	v_add_f64 v[10:11], v[10:11], v[74:75]
	v_add_f64 v[114:115], v[20:21], v[61:62]
	v_add_f64 v[120:121], v[22:23], v[59:60]
	v_add_f64 v[102:103], v[16:17], -v[20:21]
	v_add_f64 v[108:109], v[22:23], -v[30:31]
	;; [unrolled: 1-line block ×4, first 2 shown]
	v_fma_f64 v[56:57], v[56:57], -0.5, v[76:77]
	v_add_f64 v[69:70], v[2:3], -v[14:15]
	v_fma_f64 v[46:47], v[46:47], -0.5, v[76:77]
	v_add_f64 v[92:93], v[14:15], -v[2:3]
	v_add_f64 v[104:105], v[24:25], -v[28:29]
	;; [unrolled: 1-line block ×3, first 2 shown]
	v_fma_f64 v[90:91], v[90:91], -0.5, v[61:62]
	v_fma_f64 v[61:62], v[94:95], -0.5, v[61:62]
	;; [unrolled: 1-line block ×3, first 2 shown]
	v_add_f64 v[76:77], v[16:17], -v[24:25]
	v_fma_f64 v[58:59], v[100:101], -0.5, v[59:60]
	v_add_f64 v[8:9], v[8:9], -v[12:13]
	v_fma_f64 v[71:72], v[71:72], -0.5, v[74:75]
	v_add_f64 v[32:33], v[32:33], v[36:37]
	v_add_f64 v[36:37], v[52:53], v[54:55]
	v_fma_f64 v[52:53], v[96:97], -0.5, v[74:75]
	v_add_f64 v[4:5], v[4:5], v[65:66]
	v_add_f64 v[6:7], v[6:7], v[10:11]
	;; [unrolled: 1-line block ×4, first 2 shown]
	v_add_f64 v[112:113], v[28:29], -v[24:25]
	v_add_f64 v[116:117], v[18:19], -v[22:23]
	;; [unrolled: 1-line block ×4, first 2 shown]
	v_fma_f64 v[18:19], v[38:39], s[8:9], v[46:47]
	v_fma_f64 v[46:47], v[38:39], s[10:11], v[46:47]
	;; [unrolled: 1-line block ×4, first 2 shown]
	v_add_f64 v[118:119], v[26:27], -v[30:31]
	v_fma_f64 v[96:97], v[108:109], s[10:11], v[61:62]
	v_fma_f64 v[60:61], v[108:109], s[8:9], v[61:62]
	;; [unrolled: 1-line block ×3, first 2 shown]
	v_add_f64 v[54:55], v[67:68], v[69:70]
	v_add_f64 v[65:66], v[88:89], v[92:93]
	;; [unrolled: 1-line block ×3, first 2 shown]
	v_fma_f64 v[92:93], v[106:107], s[8:9], v[90:91]
	v_fma_f64 v[90:91], v[106:107], s[10:11], v[90:91]
	;; [unrolled: 1-line block ×9, first 2 shown]
	v_add_f64 v[0:1], v[0:1], v[4:5]
	v_add_f64 v[4:5], v[2:3], v[6:7]
	;; [unrolled: 1-line block ×6, first 2 shown]
	v_fma_f64 v[16:17], v[50:51], s[4:5], v[18:19]
	v_fma_f64 v[18:19], v[50:51], s[6:7], v[46:47]
	;; [unrolled: 1-line block ×6, first 2 shown]
	v_add_f64 v[110:111], v[116:117], v[118:119]
	v_fma_f64 v[24:25], v[108:109], s[4:5], v[92:93]
	v_fma_f64 v[26:27], v[108:109], s[6:7], v[90:91]
	;; [unrolled: 1-line block ×10, first 2 shown]
	v_add_co_u32 v75, vcc_lo, v122, v34
	v_add_f64 v[2:3], v[12:13], v[0:1]
	v_add_f64 v[0:1], v[14:15], v[4:5]
	;; [unrolled: 1-line block ×4, first 2 shown]
	v_add_co_ci_u32_e32 v76, vcc_lo, v123, v35, vcc_lo
	v_fma_f64 v[10:11], v[32:33], s[0:1], v[16:17]
	v_fma_f64 v[14:15], v[32:33], s[0:1], v[18:19]
	;; [unrolled: 1-line block ×16, first 2 shown]
	v_add_co_u32 v40, vcc_lo, v122, v40
	v_add_co_ci_u32_e32 v41, vcc_lo, v123, v41, vcc_lo
	v_add_co_u32 v42, vcc_lo, v122, v42
	v_add_co_ci_u32_e32 v43, vcc_lo, v123, v43, vcc_lo
	;; [unrolled: 2-line block ×3, first 2 shown]
	global_store_dwordx4 v[78:79], v[4:7], off
	global_store_dwordx4 v[63:64], v[32:35], off
	;; [unrolled: 1-line block ×10, first 2 shown]
.LBB0_19:
	s_endpgm
	.section	.rodata,"a",@progbits
	.p2align	6, 0x0
	.amdhsa_kernel fft_rtc_back_len910_factors_13_2_7_5_wgs_182_tpt_91_dp_ip_CI_sbrr_dirReg
		.amdhsa_group_segment_fixed_size 0
		.amdhsa_private_segment_fixed_size 0
		.amdhsa_kernarg_size 88
		.amdhsa_user_sgpr_count 6
		.amdhsa_user_sgpr_private_segment_buffer 1
		.amdhsa_user_sgpr_dispatch_ptr 0
		.amdhsa_user_sgpr_queue_ptr 0
		.amdhsa_user_sgpr_kernarg_segment_ptr 1
		.amdhsa_user_sgpr_dispatch_id 0
		.amdhsa_user_sgpr_flat_scratch_init 0
		.amdhsa_user_sgpr_private_segment_size 0
		.amdhsa_wavefront_size32 1
		.amdhsa_uses_dynamic_stack 0
		.amdhsa_system_sgpr_private_segment_wavefront_offset 0
		.amdhsa_system_sgpr_workgroup_id_x 1
		.amdhsa_system_sgpr_workgroup_id_y 0
		.amdhsa_system_sgpr_workgroup_id_z 0
		.amdhsa_system_sgpr_workgroup_info 0
		.amdhsa_system_vgpr_workitem_id 0
		.amdhsa_next_free_vgpr 194
		.amdhsa_next_free_sgpr 44
		.amdhsa_reserve_vcc 1
		.amdhsa_reserve_flat_scratch 0
		.amdhsa_float_round_mode_32 0
		.amdhsa_float_round_mode_16_64 0
		.amdhsa_float_denorm_mode_32 3
		.amdhsa_float_denorm_mode_16_64 3
		.amdhsa_dx10_clamp 1
		.amdhsa_ieee_mode 1
		.amdhsa_fp16_overflow 0
		.amdhsa_workgroup_processor_mode 1
		.amdhsa_memory_ordered 1
		.amdhsa_forward_progress 0
		.amdhsa_shared_vgpr_count 0
		.amdhsa_exception_fp_ieee_invalid_op 0
		.amdhsa_exception_fp_denorm_src 0
		.amdhsa_exception_fp_ieee_div_zero 0
		.amdhsa_exception_fp_ieee_overflow 0
		.amdhsa_exception_fp_ieee_underflow 0
		.amdhsa_exception_fp_ieee_inexact 0
		.amdhsa_exception_int_div_zero 0
	.end_amdhsa_kernel
	.text
.Lfunc_end0:
	.size	fft_rtc_back_len910_factors_13_2_7_5_wgs_182_tpt_91_dp_ip_CI_sbrr_dirReg, .Lfunc_end0-fft_rtc_back_len910_factors_13_2_7_5_wgs_182_tpt_91_dp_ip_CI_sbrr_dirReg
                                        ; -- End function
	.section	.AMDGPU.csdata,"",@progbits
; Kernel info:
; codeLenInByte = 11508
; NumSgprs: 46
; NumVgprs: 194
; ScratchSize: 0
; MemoryBound: 1
; FloatMode: 240
; IeeeMode: 1
; LDSByteSize: 0 bytes/workgroup (compile time only)
; SGPRBlocks: 5
; VGPRBlocks: 24
; NumSGPRsForWavesPerEU: 46
; NumVGPRsForWavesPerEU: 194
; Occupancy: 4
; WaveLimiterHint : 1
; COMPUTE_PGM_RSRC2:SCRATCH_EN: 0
; COMPUTE_PGM_RSRC2:USER_SGPR: 6
; COMPUTE_PGM_RSRC2:TRAP_HANDLER: 0
; COMPUTE_PGM_RSRC2:TGID_X_EN: 1
; COMPUTE_PGM_RSRC2:TGID_Y_EN: 0
; COMPUTE_PGM_RSRC2:TGID_Z_EN: 0
; COMPUTE_PGM_RSRC2:TIDIG_COMP_CNT: 0
	.text
	.p2alignl 6, 3214868480
	.fill 48, 4, 3214868480
	.type	__hip_cuid_7053cadc56de018e,@object ; @__hip_cuid_7053cadc56de018e
	.section	.bss,"aw",@nobits
	.globl	__hip_cuid_7053cadc56de018e
__hip_cuid_7053cadc56de018e:
	.byte	0                               ; 0x0
	.size	__hip_cuid_7053cadc56de018e, 1

	.ident	"AMD clang version 19.0.0git (https://github.com/RadeonOpenCompute/llvm-project roc-6.4.0 25133 c7fe45cf4b819c5991fe208aaa96edf142730f1d)"
	.section	".note.GNU-stack","",@progbits
	.addrsig
	.addrsig_sym __hip_cuid_7053cadc56de018e
	.amdgpu_metadata
---
amdhsa.kernels:
  - .args:
      - .actual_access:  read_only
        .address_space:  global
        .offset:         0
        .size:           8
        .value_kind:     global_buffer
      - .offset:         8
        .size:           8
        .value_kind:     by_value
      - .actual_access:  read_only
        .address_space:  global
        .offset:         16
        .size:           8
        .value_kind:     global_buffer
      - .actual_access:  read_only
        .address_space:  global
        .offset:         24
        .size:           8
        .value_kind:     global_buffer
      - .offset:         32
        .size:           8
        .value_kind:     by_value
      - .actual_access:  read_only
        .address_space:  global
        .offset:         40
        .size:           8
        .value_kind:     global_buffer
      - .actual_access:  read_only
        .address_space:  global
        .offset:         48
        .size:           8
        .value_kind:     global_buffer
      - .offset:         56
        .size:           4
        .value_kind:     by_value
      - .actual_access:  read_only
        .address_space:  global
        .offset:         64
        .size:           8
        .value_kind:     global_buffer
      - .actual_access:  read_only
        .address_space:  global
        .offset:         72
        .size:           8
        .value_kind:     global_buffer
      - .address_space:  global
        .offset:         80
        .size:           8
        .value_kind:     global_buffer
    .group_segment_fixed_size: 0
    .kernarg_segment_align: 8
    .kernarg_segment_size: 88
    .language:       OpenCL C
    .language_version:
      - 2
      - 0
    .max_flat_workgroup_size: 182
    .name:           fft_rtc_back_len910_factors_13_2_7_5_wgs_182_tpt_91_dp_ip_CI_sbrr_dirReg
    .private_segment_fixed_size: 0
    .sgpr_count:     46
    .sgpr_spill_count: 0
    .symbol:         fft_rtc_back_len910_factors_13_2_7_5_wgs_182_tpt_91_dp_ip_CI_sbrr_dirReg.kd
    .uniform_work_group_size: 1
    .uses_dynamic_stack: false
    .vgpr_count:     194
    .vgpr_spill_count: 0
    .wavefront_size: 32
    .workgroup_processor_mode: 1
amdhsa.target:   amdgcn-amd-amdhsa--gfx1030
amdhsa.version:
  - 1
  - 2
...

	.end_amdgpu_metadata
